;; amdgpu-corpus repo=ROCm/rocm-examples kind=compiled arch=gfx950 opt=O3
	.amdgcn_target "amdgcn-amd-amdhsa--gfx950"
	.amdhsa_code_object_version 6
	.text
	.protected	_Z14gemm_rocwmma_djjjPKdS0_S0_Pdjjjjdd ; -- Begin function _Z14gemm_rocwmma_djjjPKdS0_S0_Pdjjjjdd
	.globl	_Z14gemm_rocwmma_djjjPKdS0_S0_Pdjjjjdd
	.p2align	8
	.type	_Z14gemm_rocwmma_djjjPKdS0_S0_Pdjjjjdd,@function
_Z14gemm_rocwmma_djjjPKdS0_S0_Pdjjjjdd: ; @_Z14gemm_rocwmma_djjjPKdS0_S0_Pdjjjjdd
; %bb.0:
	s_load_dwordx4 s[16:19], s[0:1], 0x0
	v_bfe_u32 v1, v0, 10, 10
	v_bfe_u32 v6, v0, 1, 9
	v_and_b32_e32 v5, 0x60, v6
	v_lshlrev_b32_e32 v4, 5, v1
	s_lshl_b32 s20, s2, 6
	s_lshl_b32 s22, s3, 6
	v_add_u32_e32 v35, s20, v5
	v_add_u32_e32 v36, s22, v4
	;; [unrolled: 1-line block ×4, first 2 shown]
	s_waitcnt lgkmcnt(0)
	v_cmp_ge_u32_e32 vcc, s16, v2
	v_cmp_ge_u32_e64 s[2:3], s17, v3
	s_and_b64 s[2:3], vcc, s[2:3]
	s_and_saveexec_b64 s[4:5], s[2:3]
	s_cbranch_execz .LBB0_5
; %bb.1:
	s_load_dwordx8 s[4:11], s[0:1], 0x10
	v_and_b32_e32 v7, 0x3ff, v0
	s_load_dwordx4 s[12:15], s[0:1], 0x30
	v_lshrrev_b32_e32 v0, 5, v7
	v_and_b32_e32 v0, 30, v0
	s_mov_b32 s21, 0
	v_add_u32_e32 v9, v0, v1
	v_lshlrev_b32_e32 v16, 2, v7
	v_bfe_u32 v0, v7, 4, 2
	s_lshl_b64 s[2:3], s[20:21], 3
	v_and_b32_e32 v8, 60, v16
	v_lshl_or_b32 v10, v9, 2, v0
	s_waitcnt lgkmcnt(0)
	s_add_u32 s2, s4, s2
	v_mad_u64_u32 v[0:1], s[16:17], s12, v10, v[8:9]
	s_addc_u32 s3, s5, s3
	v_mov_b32_e32 v1, 0
	s_mov_b32 s23, s21
	v_lshl_add_u64 v[2:3], v[0:1], 3, s[2:3]
	s_lshl_b64 s[2:3], s[22:23], 3
	global_load_dwordx4 v[12:15], v[2:3], off
	global_load_dwordx4 v[20:23], v[2:3], off offset:16
	s_add_u32 s2, s6, s2
	v_mad_u64_u32 v[2:3], s[16:17], s13, v10, v[8:9]
	s_addc_u32 s3, s7, s3
	v_mov_b32_e32 v3, v1
	v_lshl_add_u64 v[10:11], v[2:3], 3, s[2:3]
	global_load_dwordx4 v[24:27], v[10:11], off offset:16
	global_load_dwordx4 v[28:31], v[10:11], off
	v_lshlrev_b32_e32 v18, 3, v5
	v_lshlrev_b32_e32 v5, 1, v7
	s_movk_i32 s2, 0x600
	v_accvgpr_write_b32 a14, 0
	v_lshlrev_b32_e32 v17, 3, v4
	v_lshlrev_b32_e32 v4, 3, v7
	;; [unrolled: 1-line block ×3, first 2 shown]
	v_and_b32_e32 v34, 30, v5
	v_accvgpr_write_b32 a15, 0
	v_and_b32_e32 v4, 0x180, v4
	v_and_or_b32 v5, v7, s2, v34
	v_lshlrev_b32_e32 v7, 9, v9
	v_accvgpr_mov_b32 a12, a14
	v_accvgpr_mov_b32 a10, a14
	;; [unrolled: 1-line block ×3, first 2 shown]
	v_accvgpr_read_b32 v45, a15
	v_accvgpr_read_b32 v43, a15
	;; [unrolled: 1-line block ×8, first 2 shown]
	v_accvgpr_mov_b32 a6, a14
	v_accvgpr_mov_b32 a4, a14
	;; [unrolled: 1-line block ×3, first 2 shown]
	v_or3_b32 v4, v7, v4, v8
	v_accvgpr_mov_b32 a0, a14
	v_accvgpr_mov_b32 a13, a15
	;; [unrolled: 1-line block ×4, first 2 shown]
	v_accvgpr_read_b32 v44, a14
	v_accvgpr_read_b32 v42, a14
	;; [unrolled: 1-line block ×8, first 2 shown]
	v_accvgpr_mov_b32 a7, a15
	v_accvgpr_mov_b32 a5, a15
	;; [unrolled: 1-line block ×3, first 2 shown]
	v_lshlrev_b32_e32 v19, 3, v5
	v_lshl_add_u32 v5, v4, 3, 0
	s_cmp_lt_u32 s18, 17
	v_accvgpr_mov_b32 a1, a15
	s_waitcnt vmcnt(2)
	ds_write_b128 v5, v[20:23] offset:16
	ds_write_b128 v5, v[12:15]
	s_waitcnt vmcnt(1)
	ds_write_b128 v5, v[24:27] offset:528
	s_waitcnt vmcnt(0)
	ds_write_b128 v5, v[28:31] offset:512
	s_waitcnt lgkmcnt(0)
	s_barrier
	s_cbranch_scc1 .LBB0_4
; %bb.2:
	v_accvgpr_write_b32 a8, 0
	v_accvgpr_write_b32 a9, 0
	s_lshl_b32 s12, s12, 4
	s_lshl_b32 s13, s13, 4
	s_mov_b32 s3, 0
	v_accvgpr_mov_b32 a11, a9
	v_accvgpr_mov_b32 a13, a9
	;; [unrolled: 1-line block ×3, first 2 shown]
	v_accvgpr_read_b32 v39, a9
	v_accvgpr_read_b32 v41, a9
	v_accvgpr_read_b32 v43, a9
	v_accvgpr_read_b32 v45, a9
	v_accvgpr_read_b32 v51, a9
	v_accvgpr_read_b32 v53, a9
	v_accvgpr_read_b32 v55, a9
	v_accvgpr_read_b32 v57, a9
	v_accvgpr_mov_b32 a0, a8
	v_accvgpr_mov_b32 a2, a8
	;; [unrolled: 1-line block ×4, first 2 shown]
	v_lshl_add_u64 v[0:1], v[0:1], 3, s[4:5]
	v_lshl_add_u64 v[2:3], v[2:3], 3, s[6:7]
	s_add_i32 s2, s20, s12
	s_add_i32 s6, 0, 0x4000
	;; [unrolled: 1-line block ×3, first 2 shown]
	s_mov_b32 s7, 16
	s_mov_b32 s5, s3
	v_accvgpr_mov_b32 a10, a8
	v_accvgpr_mov_b32 a12, a8
	;; [unrolled: 1-line block ×3, first 2 shown]
	v_accvgpr_read_b32 v38, a8
	v_accvgpr_read_b32 v40, a8
	v_accvgpr_read_b32 v42, a8
	v_accvgpr_read_b32 v44, a8
	v_accvgpr_read_b32 v50, a8
	v_accvgpr_read_b32 v52, a8
	v_accvgpr_read_b32 v54, a8
	v_accvgpr_read_b32 v56, a8
	v_accvgpr_mov_b32 a1, a9
	v_accvgpr_mov_b32 a3, a9
	;; [unrolled: 1-line block ×4, first 2 shown]
.LBB0_3:                                ; =>This Inner Loop Header: Depth=1
	s_mov_b32 s21, s6
	s_mov_b32 s6, s5
	;; [unrolled: 1-line block ×3, first 2 shown]
	v_accvgpr_write_b32 a16, v50
	v_accvgpr_write_b32 a24, v38
	v_lshl_add_u64 v[8:9], s[2:3], 3, v[0:1]
	v_add3_u32 v5, s6, v18, v19
	v_lshl_add_u64 v[10:11], s[4:5], 3, v[2:3]
	v_accvgpr_write_b32 a17, v51
	v_accvgpr_write_b32 a18, v52
	;; [unrolled: 1-line block ×14, first 2 shown]
	v_add3_u32 v7, s6, v17, v19
	global_load_dwordx4 v[20:23], v[8:9], off
	global_load_dwordx4 v[24:27], v[8:9], off offset:16
	ds_read_b128 v[28:31], v5
	ds_read_b128 v[38:41], v5 offset:1024
	ds_read_b128 v[42:45], v5 offset:2048
	;; [unrolled: 1-line block ×7, first 2 shown]
	global_load_dwordx4 v[66:69], v[10:11], off
	global_load_dwordx4 v[70:73], v[10:11], off offset:16
	s_waitcnt lgkmcnt(3)
	v_mfma_f64_16x16x4_f64 a[24:31], v[30:31], v[50:51], a[24:31]
	s_add_i32 s7, s7, 16
	s_add_i32 s2, s2, s12
	;; [unrolled: 1-line block ×3, first 2 shown]
	s_mov_b32 s5, s21
	s_cmp_ge_u32 s7, s18
	v_lshl_add_u32 v12, v4, 3, s21
	s_waitcnt vmcnt(2)
	ds_write_b128 v12, v[24:27] offset:16
	ds_write_b128 v12, v[20:23]
	s_waitcnt vmcnt(0)
	ds_write_b128 v12, v[70:73] offset:528
	ds_write_b128 v12, v[66:69] offset:512
	v_mfma_f64_16x16x4_f64 a[16:23], v[28:29], v[52:53], a[16:23]
	v_mfma_f64_16x16x4_f64 a[8:15], v[30:31], v[52:53], a[8:15]
	;; [unrolled: 1-line block ×3, first 2 shown]
	s_waitcnt lgkmcnt(6)
	v_mfma_f64_16x16x4_f64 a[24:31], v[40:41], v[54:55], a[24:31]
	s_waitcnt lgkmcnt(0)
	s_barrier
	v_mfma_f64_16x16x4_f64 a[16:23], v[38:39], v[56:57], a[16:23]
	v_mfma_f64_16x16x4_f64 a[8:15], v[40:41], v[56:57], a[8:15]
	;; [unrolled: 1-line block ×11, first 2 shown]
	s_nop 15
	v_accvgpr_read_b32 v39, a25
	v_accvgpr_read_b32 v38, a24
	;; [unrolled: 1-line block ×16, first 2 shown]
	s_cbranch_scc0 .LBB0_3
.LBB0_4:
	v_mad_u64_u32 v[32:33], s[2:3], s14, v35, v[36:37]
	v_mov_b32_e32 v0, s8
	v_mov_b32_e32 v1, s9
	v_mov_b32_e32 v33, 0
	v_and_b32_e32 v48, 24, v6
	v_lshl_add_u64 v[4:5], v[32:33], 3, v[0:1]
	v_mad_u64_u32 v[0:1], s[2:3], s14, v48, v[34:35]
	v_add_u32_e32 v32, s14, v0
	v_mov_b32_e32 v1, v33
	v_lshl_add_u64 v[6:7], v[32:33], 3, v[4:5]
	v_add_u32_e32 v32, s14, v32
	v_lshl_add_u64 v[2:3], v[0:1], 3, v[4:5]
	v_lshl_add_u64 v[0:1], v[32:33], 3, v[4:5]
	v_add_u32_e32 v32, s14, v32
	v_lshl_add_u64 v[12:13], v[32:33], 3, v[4:5]
	v_add_u32_e32 v32, s14, v32
	global_load_dwordx4 v[24:27], v[2:3], off
	global_load_dwordx4 v[8:11], v[0:1], off
	v_lshl_add_u64 v[0:1], v[32:33], 3, v[4:5]
	global_load_dwordx4 v[28:31], v[0:1], off
	v_add_u32_e32 v32, s14, v32
	v_lshl_add_u64 v[14:15], v[32:33], 3, v[4:5]
	v_add_u32_e32 v32, s14, v32
	v_lshl_add_u64 v[0:1], v[32:33], 3, v[4:5]
	global_load_dwordx4 v[0:3], v[0:1], off
	v_add3_u32 v49, s21, v18, v19
	ds_read_b128 v[66:69], v49
	v_add3_u32 v70, s21, v17, v19
	ds_read_b128 v[78:81], v70 offset:512
	v_accvgpr_mov_b32 a23, a7
	v_accvgpr_write_b32 a24, v50
	v_accvgpr_mov_b32 a22, a6
	v_accvgpr_mov_b32 a21, a5
	;; [unrolled: 1-line block ×7, first 2 shown]
	v_accvgpr_write_b32 a25, v51
	v_accvgpr_write_b32 a26, v52
	v_accvgpr_write_b32 a27, v53
	v_accvgpr_write_b32 a28, v54
	v_accvgpr_write_b32 a29, v55
	v_accvgpr_write_b32 a30, v56
	v_accvgpr_write_b32 a31, v57
	v_add_u32_e32 v32, s14, v32
	s_waitcnt lgkmcnt(0)
	v_mfma_f64_16x16x4_f64 a[16:23], v[66:67], v[78:79], a[16:23]
	s_movk_i32 s4, 0x80
	ds_read_b128 v[58:61], v49 offset:1024
	ds_read_b128 v[62:65], v70 offset:1536
	s_load_dwordx4 s[0:3], s[0:1], 0x40
	v_bfrev_b32_e32 v17, 0.5
	v_lshl_add_u64 v[4:5], v[32:33], 3, v[4:5]
	v_bitop3_b32 v37, v16, s4, v17 bitop3:0x6c
	global_load_dwordx4 v[20:23], v[6:7], off
	global_load_dwordx4 v[16:19], v[14:15], off
	v_accvgpr_write_b32 a0, v38
	global_load_dwordx4 v[12:15], v[12:13], off
	ds_read_b128 v[82:85], v49 offset:2048
	ds_read_b128 v[86:89], v70 offset:2560
	global_load_dwordx4 v[4:7], v[4:5], off
	v_mfma_f64_16x16x4_f64 a[24:31], v[66:67], v[80:81], a[24:31]
	ds_read_b128 v[90:93], v49 offset:3072
	ds_read_b128 v[94:97], v70 offset:3584
	v_accvgpr_write_b32 a1, v39
	v_accvgpr_write_b32 a2, v40
	;; [unrolled: 1-line block ×7, first 2 shown]
	v_mov_b32_e32 v46, s10
	v_mov_b32_e32 v47, s11
	s_waitcnt lgkmcnt(0)
	v_mfma_f64_16x16x4_f64 a[16:23], v[58:59], v[62:63], a[16:23]
	v_mfma_f64_16x16x4_f64 a[0:7], v[68:69], v[78:79], a[0:7]
	;; [unrolled: 1-line block ×8, first 2 shown]
	s_waitcnt vmcnt(7)
	ds_swizzle_b32 v52, v25 offset:swizzle(ROTATE,1,16)
	s_waitcnt vmcnt(6)
	ds_swizzle_b32 v56, v8 offset:swizzle(ROTATE,1,16)
	ds_swizzle_b32 v57, v9 offset:swizzle(ROTATE,1,16)
	s_waitcnt vmcnt(5)
	ds_swizzle_b32 v71, v28 offset:swizzle(ROTATE,1,16)
	ds_swizzle_b32 v72, v29 offset:swizzle(ROTATE,1,16)
	;; [unrolled: 1-line block ×5, first 2 shown]
	s_waitcnt vmcnt(4)
	ds_swizzle_b32 v50, v0 offset:swizzle(ROTATE,1,16)
	ds_swizzle_b32 v51, v1 offset:swizzle(ROTATE,1,16)
	;; [unrolled: 1-line block ×7, first 2 shown]
	s_waitcnt lgkmcnt(14)
	v_mov_b32_dpp v9, v52 quad_perm:[0,1,2,3] row_mask:0x5 bank_mask:0xf
	ds_swizzle_b32 v52, v2 offset:swizzle(ROTATE,1,16)
	ds_permute_b32 v75, v37, v9
	s_waitcnt lgkmcnt(13)
	v_mov_b32_dpp v0, v71 quad_perm:[0,1,2,3] row_mask:0x5 bank_mask:0xf
	s_waitcnt lgkmcnt(12)
	v_mov_b32_dpp v1, v72 quad_perm:[0,1,2,3] row_mask:0x5 bank_mask:0xf
	v_mov_b32_dpp v56, v24 quad_perm:[0,1,2,3] row_mask:0x5 bank_mask:0xf
	ds_permute_b32 v24, v37, v0
	ds_permute_b32 v76, v37, v56
	v_mov_b32_dpp v57, v25 quad_perm:[0,1,2,3] row_mask:0x5 bank_mask:0xf
	ds_permute_b32 v25, v37, v1
	ds_permute_b32 v77, v37, v57
	s_waitcnt lgkmcnt(14)
	v_mov_b32_dpp v8, v32 quad_perm:[0,1,2,3] row_mask:0x5 bank_mask:0xf
	ds_permute_b32 v32, v37, v8
	s_waitcnt lgkmcnt(13)
	v_mov_b32_dpp v50, v28 quad_perm:[0,1,2,3] row_mask:0x5 bank_mask:0xf
	s_waitcnt lgkmcnt(12)
	v_mov_b32_dpp v51, v29 quad_perm:[0,1,2,3] row_mask:0x5 bank_mask:0xf
	;; [unrolled: 2-line block ×3, first 2 shown]
	v_mov_b32_dpp v53, v31 quad_perm:[0,1,2,3] row_mask:0x5 bank_mask:0xf
	v_mov_b32_dpp v2, v73 quad_perm:[0,1,2,3] row_mask:0x5 bank_mask:0xf
	ds_permute_b32 v28, v37, v2
	v_mov_b32_dpp v3, v74 quad_perm:[0,1,2,3] row_mask:0x5 bank_mask:0xf
	ds_permute_b32 v29, v37, v3
	;; [unrolled: 2-line block ×3, first 2 shown]
	ds_permute_b32 v30, v37, v66
	s_waitcnt vmcnt(1)
	ds_swizzle_b32 v58, v12 offset:swizzle(ROTATE,1,16)
	ds_swizzle_b32 v59, v13 offset:swizzle(ROTATE,1,16)
	v_mov_b32_dpp v67, v27 quad_perm:[0,1,2,3] row_mask:0x5 bank_mask:0xf
	ds_permute_b32 v27, v37, v51
	ds_permute_b32 v31, v37, v67
	s_waitcnt lgkmcnt(12)
	v_mov_b32_dpp v24, v8 quad_perm:[0,1,2,3] row_mask:0x3 bank_mask:0xf
	ds_permute_b32 v8, v37, v52
	s_waitcnt lgkmcnt(11)
	v_mov_b32_dpp v25, v9 quad_perm:[0,1,2,3] row_mask:0x3 bank_mask:0xf
	ds_permute_b32 v9, v37, v53
	v_mov_b32_dpp v10, v54 quad_perm:[0,1,2,3] row_mask:0x5 bank_mask:0xf
	ds_swizzle_b32 v54, v20 offset:swizzle(ROTATE,1,16)
	v_mov_b32_dpp v11, v55 quad_perm:[0,1,2,3] row_mask:0x5 bank_mask:0xf
	ds_permute_b32 v49, v37, v11
	ds_swizzle_b32 v55, v21 offset:swizzle(ROTATE,1,16)
	s_waitcnt lgkmcnt(13)
	v_mov_b32_dpp v0, v32 quad_perm:[0,1,2,3] row_mask:0x3 bank_mask:0xf
	ds_permute_b32 v32, v37, v10
	s_waitcnt lgkmcnt(11)
	v_mov_b32_dpp v26, v56 quad_perm:[0,1,2,3] row_mask:0x3 bank_mask:0xf
	ds_swizzle_b32 v56, v16 offset:swizzle(ROTATE,1,16)
	s_waitcnt lgkmcnt(8)
	v_mov_b32_dpp v27, v57 quad_perm:[0,1,2,3] row_mask:0x3 bank_mask:0xf
	ds_swizzle_b32 v57, v17 offset:swizzle(ROTATE,1,16)
	s_waitcnt lgkmcnt(7)
	v_mov_b32_dpp v8, v66 quad_perm:[0,1,2,3] row_mask:0x3 bank_mask:0xf
	s_waitcnt lgkmcnt(6)
	v_mov_b32_dpp v9, v67 quad_perm:[0,1,2,3] row_mask:0x3 bank_mask:0xf
	v_mov_b32_dpp v28, v10 quad_perm:[0,1,2,3] row_mask:0x3 bank_mask:0xf
	;; [unrolled: 1-line block ×5, first 2 shown]
	v_mul_f64 v[38:39], s[2:3], v[26:27]
	v_mul_f64 v[42:43], s[2:3], v[8:9]
	;; [unrolled: 1-line block ×3, first 2 shown]
	v_mov_b32_dpp v50, v76 quad_perm:[0,1,2,3] row_mask:0x3 bank_mask:0xf
	v_mov_b32_dpp v51, v77 quad_perm:[0,1,2,3] row_mask:0x3 bank_mask:0xf
	s_waitcnt lgkmcnt(2)
	v_mov_b32_dpp v2, v32 quad_perm:[0,1,2,3] row_mask:0x3 bank_mask:0xf
	v_mov_b32_dpp v3, v49 quad_perm:[0,1,2,3] row_mask:0x3 bank_mask:0xf
	v_mul_f64 v[24:25], s[2:3], v[24:25]
	v_mul_f64 v[44:45], s[2:3], v[52:53]
	v_mov_b32_dpp v1, v75 quad_perm:[0,1,2,3] row_mask:0x3 bank_mask:0xf
	v_mul_f64 v[40:41], s[2:3], v[50:51]
	v_mul_f64 v[2:3], s[2:3], v[2:3]
	;; [unrolled: 1-line block ×3, first 2 shown]
	v_mov_b32_dpp v58, v20 quad_perm:[0,1,2,3] row_mask:0x5 bank_mask:0xf
	s_waitcnt vmcnt(0)
	ds_swizzle_b32 v20, v6 offset:swizzle(ROTATE,1,16)
	v_mov_b32_dpp v59, v21 quad_perm:[0,1,2,3] row_mask:0x5 bank_mask:0xf
	ds_swizzle_b32 v21, v7 offset:swizzle(ROTATE,1,16)
	v_mov_b32_dpp v12, v54 quad_perm:[0,1,2,3] row_mask:0x5 bank_mask:0xf
	;; [unrolled: 2-line block ×3, first 2 shown]
	ds_swizzle_b32 v55, v19 offset:swizzle(ROTATE,1,16)
	s_waitcnt lgkmcnt(3)
	v_mov_b32_dpp v20, v18 quad_perm:[0,1,2,3] row_mask:0x5 bank_mask:0xf
	s_waitcnt lgkmcnt(2)
	v_mov_b32_dpp v21, v19 quad_perm:[0,1,2,3] row_mask:0x5 bank_mask:0xf
	s_waitcnt lgkmcnt(1)
	v_mov_b32_dpp v6, v54 quad_perm:[0,1,2,3] row_mask:0x5 bank_mask:0xf
	v_mfma_f64_16x16x4_f64 a[16:23], v[90:91], v[94:95], a[16:23]
	s_waitcnt lgkmcnt(0)
	v_mov_b32_dpp v7, v55 quad_perm:[0,1,2,3] row_mask:0x5 bank_mask:0xf
	v_mfma_f64_16x16x4_f64 a[24:31], v[90:91], v[96:97], a[24:31]
	v_mfma_f64_16x16x4_f64 a[0:7], v[84:85], v[86:87], a[0:7]
	;; [unrolled: 1-line block ×4, first 2 shown]
	s_nop 12
	v_accvgpr_read_b32 v11, a17
	v_accvgpr_read_b32 v10, a16
	s_nop 0
	v_accvgpr_read_b32 v9, a27
	v_accvgpr_read_b32 v8, a26
	v_fmac_f64_e32 v[38:39], s[0:1], v[10:11]
	v_accvgpr_read_b32 v11, a19
	v_accvgpr_read_b32 v10, a18
	v_fmac_f64_e32 v[26:27], s[0:1], v[8:9]
	;; [unrolled: 3-line block ×3, first 2 shown]
	ds_swizzle_b32 v32, v24 offset:swizzle(ROTATE,1,16)
	v_accvgpr_read_b32 v11, a21
	v_accvgpr_read_b32 v10, a20
	v_fmac_f64_e32 v[44:45], s[0:1], v[8:9]
	v_accvgpr_read_b32 v9, a31
	v_accvgpr_read_b32 v8, a30
	v_fmac_f64_e32 v[40:41], s[0:1], v[10:11]
	ds_swizzle_b32 v60, v40 offset:swizzle(ROTATE,1,16)
	ds_swizzle_b32 v61, v41 offset:swizzle(ROTATE,1,16)
	v_accvgpr_read_b32 v11, a23
	v_accvgpr_read_b32 v10, a22
	v_fmac_f64_e32 v[2:3], s[0:1], v[8:9]
	v_mad_u64_u32 v[8:9], s[4:5], s15, v35, v[36:37]
	ds_swizzle_b32 v35, v25 offset:swizzle(ROTATE,1,16)
	ds_swizzle_b32 v36, v26 offset:swizzle(ROTATE,1,16)
	v_fmac_f64_e32 v[0:1], s[0:1], v[10:11]
	v_accvgpr_read_b32 v11, a25
	v_accvgpr_read_b32 v10, a24
	v_mov_b32_e32 v9, v33
	v_fmac_f64_e32 v[42:43], s[0:1], v[10:11]
	ds_swizzle_b32 v10, v2 offset:swizzle(ROTATE,1,16)
	ds_swizzle_b32 v11, v3 offset:swizzle(ROTATE,1,16)
	;; [unrolled: 1-line block ×4, first 2 shown]
	v_lshl_add_u64 v[28:29], v[8:9], 3, v[46:47]
	ds_swizzle_b32 v8, v0 offset:swizzle(ROTATE,1,16)
	ds_swizzle_b32 v9, v1 offset:swizzle(ROTATE,1,16)
	;; [unrolled: 1-line block ×4, first 2 shown]
	s_waitcnt lgkmcnt(7)
	v_mov_b32_dpp v10, v44 quad_perm:[0,1,2,3] row_mask:0x5 bank_mask:0xf
	ds_permute_b32 v52, v37, v10
	ds_swizzle_b32 v44, v44 offset:swizzle(ROTATE,1,16)
	s_waitcnt lgkmcnt(5)
	v_mov_b32_dpp v8, v40 quad_perm:[0,1,2,3] row_mask:0x5 bank_mask:0xf
	ds_permute_b32 v50, v37, v8
	s_waitcnt lgkmcnt(5)
	v_mov_b32_dpp v9, v41 quad_perm:[0,1,2,3] row_mask:0x5 bank_mask:0xf
	ds_permute_b32 v51, v37, v9
	v_mov_b32_dpp v11, v45 quad_perm:[0,1,2,3] row_mask:0x5 bank_mask:0xf
	ds_permute_b32 v53, v37, v11
	ds_swizzle_b32 v45, v45 offset:swizzle(ROTATE,1,16)
	v_mov_b32_dpp v35, v39 quad_perm:[0,1,2,3] row_mask:0x5 bank_mask:0xf
	v_mad_u64_u32 v[30:31], s[4:5], s15, v48, v[34:35]
	ds_permute_b32 v34, v37, v59
	v_mov_b32_dpp v32, v38 quad_perm:[0,1,2,3] row_mask:0x5 bank_mask:0xf
	ds_permute_b32 v55, v37, v32
	v_mov_b32_dpp v36, v42 quad_perm:[0,1,2,3] row_mask:0x5 bank_mask:0xf
	s_waitcnt lgkmcnt(9)
	v_mov_b32_dpp v46, v43 quad_perm:[0,1,2,3] row_mask:0x5 bank_mask:0xf
	v_mov_b32_e32 v31, v33
	s_waitcnt lgkmcnt(5)
	v_mov_b32_dpp v50, v32 quad_perm:[0,1,2,3] row_mask:0x3 bank_mask:0xf
	s_waitcnt lgkmcnt(4)
	v_mov_b32_dpp v51, v35 quad_perm:[0,1,2,3] row_mask:0x3 bank_mask:0xf
	ds_permute_b32 v35, v37, v35
	v_mov_b32_dpp v52, v36 quad_perm:[0,1,2,3] row_mask:0x3 bank_mask:0xf
	ds_permute_b32 v36, v37, v36
	s_waitcnt lgkmcnt(5)
	v_mov_b32_dpp v53, v46 quad_perm:[0,1,2,3] row_mask:0x3 bank_mask:0xf
	ds_permute_b32 v46, v37, v46
	v_lshl_add_u64 v[48:49], v[30:31], 3, v[28:29]
	global_store_dwordx4 v[48:49], v[50:53], off
	ds_swizzle_b32 v48, v4 offset:swizzle(ROTATE,1,16)
	ds_swizzle_b32 v49, v5 offset:swizzle(ROTATE,1,16)
	;; [unrolled: 1-line block ×4, first 2 shown]
	ds_permute_b32 v52, v37, v12
	ds_permute_b32 v53, v37, v13
	;; [unrolled: 1-line block ×3, first 2 shown]
	s_waitcnt lgkmcnt(6)
	v_mov_b32_dpp v48, v16 quad_perm:[0,1,2,3] row_mask:0x5 bank_mask:0xf
	ds_permute_b32 v16, v37, v48
	s_waitcnt lgkmcnt(6)
	v_mov_b32_dpp v49, v17 quad_perm:[0,1,2,3] row_mask:0x5 bank_mask:0xf
	ds_permute_b32 v17, v37, v49
	v_mov_b32_dpp v47, v22 quad_perm:[0,1,2,3] row_mask:0x5 bank_mask:0xf
	ds_swizzle_b32 v22, v23 offset:swizzle(ROTATE,1,16)
	ds_permute_b32 v64, v37, v47
	v_mov_b32_dpp v4, v56 quad_perm:[0,1,2,3] row_mask:0x5 bank_mask:0xf
	ds_permute_b32 v18, v37, v4
	ds_swizzle_b32 v56, v38 offset:swizzle(ROTATE,1,16)
	v_mov_b32_dpp v5, v57 quad_perm:[0,1,2,3] row_mask:0x5 bank_mask:0xf
	ds_permute_b32 v19, v37, v5
	ds_swizzle_b32 v57, v39 offset:swizzle(ROTATE,1,16)
	s_waitcnt lgkmcnt(7)
	v_mov_b32_dpp v16, v58 quad_perm:[0,1,2,3] row_mask:0x3 bank_mask:0xf
	s_waitcnt lgkmcnt(6)
	v_mov_b32_dpp v17, v59 quad_perm:[0,1,2,3] row_mask:0x3 bank_mask:0xf
	v_mov_b32_dpp v50, v23 quad_perm:[0,1,2,3] row_mask:0x5 bank_mask:0xf
	ds_permute_b32 v58, v37, v50
	ds_permute_b32 v23, v37, v21
	v_mul_f64 v[40:41], s[2:3], v[16:17]
	ds_permute_b32 v16, v37, v6
	ds_permute_b32 v17, v37, v7
	v_mov_b32_dpp v14, v51 quad_perm:[0,1,2,3] row_mask:0x5 bank_mask:0xf
	ds_permute_b32 v51, v37, v14
	s_waitcnt lgkmcnt(10)
	v_mov_b32_dpp v15, v22 quad_perm:[0,1,2,3] row_mask:0x5 bank_mask:0xf
	ds_permute_b32 v65, v37, v15
	ds_permute_b32 v22, v37, v20
	s_waitcnt lgkmcnt(10)
	v_mov_b32_dpp v18, v12 quad_perm:[0,1,2,3] row_mask:0x3 bank_mask:0xf
	s_waitcnt lgkmcnt(8)
	v_mov_b32_dpp v19, v13 quad_perm:[0,1,2,3] row_mask:0x3 bank_mask:0xf
	v_mov_b32_dpp v4, v52 quad_perm:[0,1,2,3] row_mask:0x3 bank_mask:0xf
	;; [unrolled: 1-line block ×3, first 2 shown]
	s_waitcnt lgkmcnt(4)
	v_mov_b32_dpp v16, v14 quad_perm:[0,1,2,3] row_mask:0x3 bank_mask:0xf
	s_waitcnt lgkmcnt(3)
	v_mov_b32_dpp v17, v15 quad_perm:[0,1,2,3] row_mask:0x3 bank_mask:0xf
	v_accvgpr_read_b32 v15, a3
	v_accvgpr_read_b32 v14, a2
	v_mul_f64 v[12:13], s[2:3], v[18:19]
	v_mov_b32_dpp v20, v64 quad_perm:[0,1,2,3] row_mask:0x3 bank_mask:0xf
	v_mov_b32_dpp v21, v58 quad_perm:[0,1,2,3] row_mask:0x3 bank_mask:0xf
	v_fmac_f64_e32 v[12:13], s[0:1], v[14:15]
	v_accvgpr_read_b32 v15, a7
	v_accvgpr_read_b32 v14, a6
	v_mul_f64 v[4:5], s[2:3], v[4:5]
	v_fmac_f64_e32 v[4:5], s[0:1], v[14:15]
	v_mul_f64 v[14:15], s[2:3], v[16:17]
	v_mul_f64 v[20:21], s[2:3], v[20:21]
	s_waitcnt lgkmcnt(2)
	v_mov_b32_dpp v6, v51 quad_perm:[0,1,2,3] row_mask:0x3 bank_mask:0xf
	ds_swizzle_b32 v51, v13 offset:swizzle(ROTATE,1,16)
	s_waitcnt lgkmcnt(2)
	v_mov_b32_dpp v7, v65 quad_perm:[0,1,2,3] row_mask:0x3 bank_mask:0xf
	v_mul_f64 v[6:7], s[2:3], v[6:7]
	v_mov_b32_dpp v48, v31 quad_perm:[0,1,2,3] row_mask:0x3 bank_mask:0xf
	v_accvgpr_read_b32 v39, a1
	v_accvgpr_read_b32 v38, a0
	v_mov_b32_dpp v49, v34 quad_perm:[0,1,2,3] row_mask:0x3 bank_mask:0xf
	v_fmac_f64_e32 v[40:41], s[0:1], v[38:39]
	ds_swizzle_b32 v31, v40 offset:swizzle(ROTATE,1,16)
	ds_swizzle_b32 v34, v41 offset:swizzle(ROTATE,1,16)
	s_waitcnt lgkmcnt(3)
	v_mov_b32_dpp v22, v47 quad_perm:[0,1,2,3] row_mask:0x3 bank_mask:0xf
	v_mov_b32_dpp v23, v50 quad_perm:[0,1,2,3] row_mask:0x3 bank_mask:0xf
	ds_swizzle_b32 v50, v12 offset:swizzle(ROTATE,1,16)
	v_accvgpr_read_b32 v39, a5
	v_accvgpr_read_b32 v38, a4
	v_mul_f64 v[42:43], s[2:3], v[48:49]
	v_fmac_f64_e32 v[42:43], s[0:1], v[38:39]
	v_mul_f64 v[22:23], s[2:3], v[22:23]
	v_mov_b32_dpp v0, v60 quad_perm:[0,1,2,3] row_mask:0x5 bank_mask:0xf
	v_mov_b32_dpp v1, v61 quad_perm:[0,1,2,3] row_mask:0x5 bank_mask:0xf
	v_mov_b32_dpp v2, v44 quad_perm:[0,1,2,3] row_mask:0x5 bank_mask:0xf
	v_mov_b32_dpp v3, v45 quad_perm:[0,1,2,3] row_mask:0x5 bank_mask:0xf
	s_waitcnt lgkmcnt(0)
	v_mov_b32_dpp v50, v40 quad_perm:[0,1,2,3] row_mask:0x5 bank_mask:0xf
	ds_permute_b32 v40, v37, v2
	ds_permute_b32 v58, v37, v50
	v_mov_b32_dpp v51, v41 quad_perm:[0,1,2,3] row_mask:0x5 bank_mask:0xf
	ds_permute_b32 v41, v37, v3
	ds_permute_b32 v59, v37, v51
	v_mov_b32_dpp v24, v56 quad_perm:[0,1,2,3] row_mask:0x5 bank_mask:0xf
	ds_permute_b32 v56, v37, v24
	v_mov_b32_dpp v25, v57 quad_perm:[0,1,2,3] row_mask:0x5 bank_mask:0xf
	;; [unrolled: 2-line block ×4, first 2 shown]
	ds_permute_b32 v63, v37, v27
	v_add_u32_e32 v32, s15, v30
	v_mov_b32_dpp v12, v31 quad_perm:[0,1,2,3] row_mask:0x5 bank_mask:0xf
	ds_permute_b32 v66, v37, v12
	v_mov_b32_dpp v13, v34 quad_perm:[0,1,2,3] row_mask:0x5 bank_mask:0xf
	ds_permute_b32 v34, v37, v13
	v_lshl_add_u64 v[30:31], v[32:33], 3, v[28:29]
	v_add_u32_e32 v32, s15, v32
	s_waitcnt lgkmcnt(9)
	v_mov_b32_dpp v40, v26 quad_perm:[0,1,2,3] row_mask:0x3 bank_mask:0xf
	s_waitcnt lgkmcnt(7)
	v_mov_b32_dpp v41, v27 quad_perm:[0,1,2,3] row_mask:0x3 bank_mask:0xf
	v_mov_b32_dpp v8, v55 quad_perm:[0,1,2,3] row_mask:0x3 bank_mask:0xf
	;; [unrolled: 1-line block ×5, first 2 shown]
	s_waitcnt lgkmcnt(3)
	v_mov_b32_dpp v2, v62 quad_perm:[0,1,2,3] row_mask:0x3 bank_mask:0xf
	s_waitcnt lgkmcnt(2)
	v_mov_b32_dpp v3, v63 quad_perm:[0,1,2,3] row_mask:0x3 bank_mask:0xf
	v_mfma_f64_16x16x4_f64 a[8:15], v[92:93], v[96:97], a[8:15]
	s_nop 15
	s_nop 2
	v_accvgpr_read_b32 v17, a13
	v_accvgpr_read_b32 v16, a12
	v_fmac_f64_e32 v[20:21], s[0:1], v[16:17]
	ds_swizzle_b32 v49, v20 offset:swizzle(ROTATE,1,16)
	ds_swizzle_b32 v52, v21 offset:swizzle(ROTATE,1,16)
	v_accvgpr_read_b32 v17, a15
	v_accvgpr_read_b32 v16, a14
	;; [unrolled: 1-line block ×4, first 2 shown]
	v_fmac_f64_e32 v[6:7], s[0:1], v[16:17]
	ds_swizzle_b32 v16, v4 offset:swizzle(ROTATE,1,16)
	ds_swizzle_b32 v17, v5 offset:swizzle(ROTATE,1,16)
	v_fmac_f64_e32 v[14:15], s[0:1], v[18:19]
	ds_swizzle_b32 v18, v6 offset:swizzle(ROTATE,1,16)
	ds_swizzle_b32 v19, v7 offset:swizzle(ROTATE,1,16)
	;; [unrolled: 1-line block ×4, first 2 shown]
	v_accvgpr_read_b32 v39, a9
	v_accvgpr_read_b32 v38, a8
	v_fmac_f64_e32 v[22:23], s[0:1], v[38:39]
	ds_swizzle_b32 v38, v42 offset:swizzle(ROTATE,1,16)
	ds_swizzle_b32 v39, v43 offset:swizzle(ROTATE,1,16)
	;; [unrolled: 1-line block ×4, first 2 shown]
	s_waitcnt lgkmcnt(9)
	v_mov_b32_dpp v16, v42 quad_perm:[0,1,2,3] row_mask:0x5 bank_mask:0xf
	s_waitcnt lgkmcnt(8)
	v_mov_b32_dpp v17, v43 quad_perm:[0,1,2,3] row_mask:0x5 bank_mask:0xf
	;; [unrolled: 2-line block ×3, first 2 shown]
	ds_permute_b32 v20, v37, v16
	s_waitcnt lgkmcnt(7)
	v_mov_b32_dpp v19, v21 quad_perm:[0,1,2,3] row_mask:0x5 bank_mask:0xf
	ds_permute_b32 v21, v37, v17
	s_waitcnt lgkmcnt(7)
	v_mov_b32_dpp v53, v22 quad_perm:[0,1,2,3] row_mask:0x5 bank_mask:0xf
	ds_permute_b32 v22, v37, v18
	ds_permute_b32 v64, v37, v53
	s_waitcnt lgkmcnt(8)
	v_mov_b32_dpp v54, v23 quad_perm:[0,1,2,3] row_mask:0x5 bank_mask:0xf
	ds_permute_b32 v23, v37, v19
	ds_permute_b32 v65, v37, v54
	s_waitcnt lgkmcnt(9)
	v_mov_b32_dpp v4, v38 quad_perm:[0,1,2,3] row_mask:0x5 bank_mask:0xf
	ds_permute_b32 v38, v37, v0
	ds_permute_b32 v42, v37, v4
	s_waitcnt lgkmcnt(10)
	v_mov_b32_dpp v5, v39 quad_perm:[0,1,2,3] row_mask:0x5 bank_mask:0xf
	ds_permute_b32 v39, v37, v1
	ds_permute_b32 v43, v37, v5
	v_mov_b32_dpp v6, v49 quad_perm:[0,1,2,3] row_mask:0x5 bank_mask:0xf
	ds_permute_b32 v44, v37, v6
	v_mov_b32_dpp v7, v52 quad_perm:[0,1,2,3] row_mask:0x5 bank_mask:0xf
	ds_permute_b32 v45, v37, v7
	s_waitcnt lgkmcnt(13)
	v_mov_b32_dpp v14, v47 quad_perm:[0,1,2,3] row_mask:0x5 bank_mask:0xf
	ds_permute_b32 v47, v37, v14
	s_waitcnt lgkmcnt(13)
	;; [unrolled: 3-line block ×3, first 2 shown]
	v_mov_b32_dpp v20, v50 quad_perm:[0,1,2,3] row_mask:0x3 bank_mask:0xf
	s_waitcnt lgkmcnt(12)
	v_mov_b32_dpp v21, v51 quad_perm:[0,1,2,3] row_mask:0x3 bank_mask:0xf
	s_waitcnt lgkmcnt(11)
	;; [unrolled: 2-line block ×3, first 2 shown]
	v_mov_b32_dpp v23, v54 quad_perm:[0,1,2,3] row_mask:0x3 bank_mask:0xf
	global_store_dwordx4 v[30:31], v[20:23], off
	s_waitcnt lgkmcnt(7)
	v_mov_b32_dpp v38, v24 quad_perm:[0,1,2,3] row_mask:0x3 bank_mask:0xf
	s_waitcnt lgkmcnt(5)
	v_mov_b32_dpp v39, v25 quad_perm:[0,1,2,3] row_mask:0x3 bank_mask:0xf
	v_lshl_add_u64 v[20:21], v[32:33], 3, v[28:29]
	global_store_dwordx4 v[20:21], v[38:41], off
	v_add_u32_e32 v32, s15, v32
	v_mov_b32_dpp v42, v12 quad_perm:[0,1,2,3] row_mask:0x3 bank_mask:0xf
	s_waitcnt lgkmcnt(4)
	v_mov_b32_dpp v43, v13 quad_perm:[0,1,2,3] row_mask:0x3 bank_mask:0xf
	s_waitcnt lgkmcnt(3)
	;; [unrolled: 2-line block ×3, first 2 shown]
	v_mov_b32_dpp v45, v15 quad_perm:[0,1,2,3] row_mask:0x3 bank_mask:0xf
	v_lshl_add_u64 v[12:13], v[32:33], 3, v[28:29]
	global_store_dwordx4 v[12:13], v[42:45], off
	v_add_u32_e32 v32, s15, v32
	v_lshl_add_u64 v[12:13], v[32:33], 3, v[28:29]
	global_store_dwordx4 v[12:13], v[8:11], off
	v_add_u32_e32 v32, s15, v32
	v_mov_b32_dpp v16, v58 quad_perm:[0,1,2,3] row_mask:0x3 bank_mask:0xf
	v_mov_b32_dpp v17, v59 quad_perm:[0,1,2,3] row_mask:0x3 bank_mask:0xf
	;; [unrolled: 1-line block ×4, first 2 shown]
	v_lshl_add_u64 v[8:9], v[32:33], 3, v[28:29]
	global_store_dwordx4 v[8:9], v[16:19], off
	v_add_u32_e32 v32, s15, v32
	v_mov_b32_dpp v0, v56 quad_perm:[0,1,2,3] row_mask:0x3 bank_mask:0xf
	v_mov_b32_dpp v1, v57 quad_perm:[0,1,2,3] row_mask:0x3 bank_mask:0xf
	v_lshl_add_u64 v[8:9], v[32:33], 3, v[28:29]
	global_store_dwordx4 v[8:9], v[0:3], off
	v_add_u32_e32 v32, s15, v32
	v_mov_b32_dpp v4, v66 quad_perm:[0,1,2,3] row_mask:0x3 bank_mask:0xf
	v_mov_b32_dpp v5, v34 quad_perm:[0,1,2,3] row_mask:0x3 bank_mask:0xf
	s_waitcnt lgkmcnt(1)
	v_mov_b32_dpp v6, v47 quad_perm:[0,1,2,3] row_mask:0x3 bank_mask:0xf
	s_waitcnt lgkmcnt(0)
	v_mov_b32_dpp v7, v37 quad_perm:[0,1,2,3] row_mask:0x3 bank_mask:0xf
	v_lshl_add_u64 v[0:1], v[32:33], 3, v[28:29]
	global_store_dwordx4 v[0:1], v[4:7], off
.LBB0_5:
	s_endpgm
	.section	.rodata,"a",@progbits
	.p2align	6, 0x0
	.amdhsa_kernel _Z14gemm_rocwmma_djjjPKdS0_S0_Pdjjjjdd
		.amdhsa_group_segment_fixed_size 0
		.amdhsa_private_segment_fixed_size 0
		.amdhsa_kernarg_size 80
		.amdhsa_user_sgpr_count 2
		.amdhsa_user_sgpr_dispatch_ptr 0
		.amdhsa_user_sgpr_queue_ptr 0
		.amdhsa_user_sgpr_kernarg_segment_ptr 1
		.amdhsa_user_sgpr_dispatch_id 0
		.amdhsa_user_sgpr_kernarg_preload_length 0
		.amdhsa_user_sgpr_kernarg_preload_offset 0
		.amdhsa_user_sgpr_private_segment_size 0
		.amdhsa_uses_dynamic_stack 0
		.amdhsa_enable_private_segment 0
		.amdhsa_system_sgpr_workgroup_id_x 1
		.amdhsa_system_sgpr_workgroup_id_y 1
		.amdhsa_system_sgpr_workgroup_id_z 0
		.amdhsa_system_sgpr_workgroup_info 0
		.amdhsa_system_vgpr_workitem_id 1
		.amdhsa_next_free_vgpr 132
		.amdhsa_next_free_sgpr 24
		.amdhsa_accum_offset 100
		.amdhsa_reserve_vcc 1
		.amdhsa_float_round_mode_32 0
		.amdhsa_float_round_mode_16_64 0
		.amdhsa_float_denorm_mode_32 3
		.amdhsa_float_denorm_mode_16_64 3
		.amdhsa_dx10_clamp 1
		.amdhsa_ieee_mode 1
		.amdhsa_fp16_overflow 0
		.amdhsa_tg_split 0
		.amdhsa_exception_fp_ieee_invalid_op 0
		.amdhsa_exception_fp_denorm_src 0
		.amdhsa_exception_fp_ieee_div_zero 0
		.amdhsa_exception_fp_ieee_overflow 0
		.amdhsa_exception_fp_ieee_underflow 0
		.amdhsa_exception_fp_ieee_inexact 0
		.amdhsa_exception_int_div_zero 0
	.end_amdhsa_kernel
	.text
.Lfunc_end0:
	.size	_Z14gemm_rocwmma_djjjPKdS0_S0_Pdjjjjdd, .Lfunc_end0-_Z14gemm_rocwmma_djjjPKdS0_S0_Pdjjjjdd
                                        ; -- End function
	.set _Z14gemm_rocwmma_djjjPKdS0_S0_Pdjjjjdd.num_vgpr, 98
	.set _Z14gemm_rocwmma_djjjPKdS0_S0_Pdjjjjdd.num_agpr, 32
	.set _Z14gemm_rocwmma_djjjPKdS0_S0_Pdjjjjdd.numbered_sgpr, 24
	.set _Z14gemm_rocwmma_djjjPKdS0_S0_Pdjjjjdd.num_named_barrier, 0
	.set _Z14gemm_rocwmma_djjjPKdS0_S0_Pdjjjjdd.private_seg_size, 0
	.set _Z14gemm_rocwmma_djjjPKdS0_S0_Pdjjjjdd.uses_vcc, 1
	.set _Z14gemm_rocwmma_djjjPKdS0_S0_Pdjjjjdd.uses_flat_scratch, 0
	.set _Z14gemm_rocwmma_djjjPKdS0_S0_Pdjjjjdd.has_dyn_sized_stack, 0
	.set _Z14gemm_rocwmma_djjjPKdS0_S0_Pdjjjjdd.has_recursion, 0
	.set _Z14gemm_rocwmma_djjjPKdS0_S0_Pdjjjjdd.has_indirect_call, 0
	.section	.AMDGPU.csdata,"",@progbits
; Kernel info:
; codeLenInByte = 5044
; TotalNumSgprs: 30
; NumVgprs: 98
; NumAgprs: 32
; TotalNumVgprs: 132
; ScratchSize: 0
; MemoryBound: 0
; FloatMode: 240
; IeeeMode: 1
; LDSByteSize: 0 bytes/workgroup (compile time only)
; SGPRBlocks: 3
; VGPRBlocks: 16
; NumSGPRsForWavesPerEU: 30
; NumVGPRsForWavesPerEU: 132
; AccumOffset: 100
; Occupancy: 3
; WaveLimiterHint : 0
; COMPUTE_PGM_RSRC2:SCRATCH_EN: 0
; COMPUTE_PGM_RSRC2:USER_SGPR: 2
; COMPUTE_PGM_RSRC2:TRAP_HANDLER: 0
; COMPUTE_PGM_RSRC2:TGID_X_EN: 1
; COMPUTE_PGM_RSRC2:TGID_Y_EN: 1
; COMPUTE_PGM_RSRC2:TGID_Z_EN: 0
; COMPUTE_PGM_RSRC2:TIDIG_COMP_CNT: 1
; COMPUTE_PGM_RSRC3_GFX90A:ACCUM_OFFSET: 24
; COMPUTE_PGM_RSRC3_GFX90A:TG_SPLIT: 0
	.text
	.p2alignl 6, 3212836864
	.fill 256, 4, 3212836864
	.section	.AMDGPU.gpr_maximums,"",@progbits
	.set amdgpu.max_num_vgpr, 0
	.set amdgpu.max_num_agpr, 0
	.set amdgpu.max_num_sgpr, 0
	.text
	.type	__hip_cuid_26ad9b8460c05b44,@object ; @__hip_cuid_26ad9b8460c05b44
	.section	.bss,"aw",@nobits
	.globl	__hip_cuid_26ad9b8460c05b44
__hip_cuid_26ad9b8460c05b44:
	.byte	0                               ; 0x0
	.size	__hip_cuid_26ad9b8460c05b44, 1

	.ident	"AMD clang version 22.0.0git (https://github.com/RadeonOpenCompute/llvm-project roc-7.2.4 26084 f58b06dce1f9c15707c5f808fd002e18c2accf7e)"
	.section	".note.GNU-stack","",@progbits
	.addrsig
	.addrsig_sym __hip_cuid_26ad9b8460c05b44
	.amdgpu_metadata
---
amdhsa.kernels:
  - .agpr_count:     32
    .args:
      - .offset:         0
        .size:           4
        .value_kind:     by_value
      - .offset:         4
        .size:           4
        .value_kind:     by_value
      - .offset:         8
        .size:           4
        .value_kind:     by_value
      - .address_space:  global
        .offset:         16
        .size:           8
        .value_kind:     global_buffer
      - .address_space:  global
        .offset:         24
        .size:           8
        .value_kind:     global_buffer
      - .address_space:  global
        .offset:         32
        .size:           8
        .value_kind:     global_buffer
      - .address_space:  global
        .offset:         40
        .size:           8
        .value_kind:     global_buffer
      - .offset:         48
        .size:           4
        .value_kind:     by_value
      - .offset:         52
        .size:           4
        .value_kind:     by_value
      - .offset:         56
        .size:           4
        .value_kind:     by_value
      - .offset:         60
        .size:           4
        .value_kind:     by_value
      - .offset:         64
        .size:           8
        .value_kind:     by_value
      - .offset:         72
        .size:           8
        .value_kind:     by_value
    .group_segment_fixed_size: 0
    .kernarg_segment_align: 8
    .kernarg_segment_size: 80
    .language:       OpenCL C
    .language_version:
      - 2
      - 0
    .max_flat_workgroup_size: 256
    .name:           _Z14gemm_rocwmma_djjjPKdS0_S0_Pdjjjjdd
    .private_segment_fixed_size: 0
    .sgpr_count:     30
    .sgpr_spill_count: 0
    .symbol:         _Z14gemm_rocwmma_djjjPKdS0_S0_Pdjjjjdd.kd
    .uniform_work_group_size: 1
    .uses_dynamic_stack: false
    .vgpr_count:     132
    .vgpr_spill_count: 0
    .wavefront_size: 64
amdhsa.target:   amdgcn-amd-amdhsa--gfx950
amdhsa.version:
  - 1
  - 2
...

	.end_amdgpu_metadata
